;; amdgpu-corpus repo=ROCm/rocFFT kind=compiled arch=gfx1030 opt=O3
	.text
	.amdgcn_target "amdgcn-amd-amdhsa--gfx1030"
	.amdhsa_code_object_version 6
	.protected	bluestein_single_back_len84_dim1_dp_op_CI_CI ; -- Begin function bluestein_single_back_len84_dim1_dp_op_CI_CI
	.globl	bluestein_single_back_len84_dim1_dp_op_CI_CI
	.p2align	8
	.type	bluestein_single_back_len84_dim1_dp_op_CI_CI,@function
bluestein_single_back_len84_dim1_dp_op_CI_CI: ; @bluestein_single_back_len84_dim1_dp_op_CI_CI
; %bb.0:
	s_load_dwordx4 s[12:15], s[4:5], 0x28
	v_mul_u32_u24_e32 v1, 0x1556, v0
	v_lshrrev_b32_e32 v1, 16, v1
	v_mad_u64_u32 v[132:133], null, s6, 10, v[1:2]
	v_mov_b32_e32 v133, 0
                                        ; kill: def $vgpr2 killed $sgpr0 killed $exec
	s_mov_b32 s0, exec_lo
	s_waitcnt lgkmcnt(0)
	v_cmpx_gt_u64_e64 s[12:13], v[132:133]
	s_cbranch_execz .LBB0_18
; %bb.1:
	s_load_dwordx4 s[0:3], s[4:5], 0x18
	v_mul_lo_u16 v1, v1, 12
	v_mul_hi_u32 v57, 0xcccccccd, v132
	s_mov_b32 s17, 0x3fe77f67
	s_mov_b32 s16, 0x5476071b
	;; [unrolled: 1-line block ×3, first 2 shown]
	v_sub_nc_u16 v48, v0, v1
	s_mov_b32 s18, 0xb247c609
	v_lshrrev_b32_e32 v57, 3, v57
	v_and_b32_e32 v135, 0xffff, v48
	v_mul_lo_u32 v75, v57, 10
	v_or_b32_e32 v136, 48, v135
	v_lshlrev_b32_e32 v76, 4, v135
	s_waitcnt lgkmcnt(0)
	s_load_dwordx4 s[8:11], s[0:1], 0x0
	v_sub_nc_u32_e32 v75, v132, v75
	s_waitcnt lgkmcnt(0)
	v_mad_u64_u32 v[0:1], null, s10, v132, 0
	v_mad_u64_u32 v[2:3], null, s8, v135, 0
	s_mul_i32 s0, s9, 0xc0
	s_mul_hi_u32 s1, s8, 0xc0
	s_mul_i32 s6, s8, 0xc0
	s_add_i32 s1, s1, s0
	v_mad_u64_u32 v[4:5], null, s11, v132, v[1:2]
	v_mad_u64_u32 v[5:6], null, s9, v135, v[3:4]
	v_mov_b32_e32 v1, v4
	v_lshlrev_b64 v[0:1], 4, v[0:1]
	v_mov_b32_e32 v3, v5
	v_add_co_u32 v28, vcc_lo, s14, v0
	v_lshlrev_b64 v[2:3], 4, v[2:3]
	v_add_co_ci_u32_e32 v29, vcc_lo, s15, v1, vcc_lo
	v_mad_u64_u32 v[0:1], null, s8, v136, 0
	s_load_dwordx4 s[12:15], s[4:5], 0x0
	v_add_co_u32 v16, vcc_lo, v28, v2
	v_add_co_ci_u32_e32 v17, vcc_lo, v29, v3, vcc_lo
	s_waitcnt lgkmcnt(0)
	s_clause 0x1
	global_load_dwordx4 v[12:15], v76, s[12:13]
	global_load_dwordx4 v[8:11], v76, s[12:13] offset:192
	v_add_co_u32 v18, vcc_lo, v16, s6
	v_add_co_ci_u32_e32 v19, vcc_lo, s1, v17, vcc_lo
	v_mad_u64_u32 v[1:2], null, s9, v136, v[1:2]
	v_add_co_u32 v20, vcc_lo, v18, s6
	v_add_co_ci_u32_e32 v21, vcc_lo, s1, v19, vcc_lo
	v_add_co_u32 v22, vcc_lo, v20, s6
	v_add_co_ci_u32_e32 v23, vcc_lo, s1, v21, vcc_lo
	v_lshlrev_b64 v[26:27], 4, v[0:1]
	s_clause 0x1
	global_load_dwordx4 v[4:7], v76, s[12:13] offset:384
	global_load_dwordx4 v[0:3], v76, s[12:13] offset:576
	v_mad_u64_u32 v[24:25], null, 0x180, s8, v[22:23]
	v_mad_u64_u32 v[40:41], null, 0x180, s9, v[25:26]
	v_add_co_u32 v26, vcc_lo, v28, v26
	v_add_co_ci_u32_e32 v27, vcc_lo, v29, v27, vcc_lo
	s_clause 0x2
	global_load_dwordx4 v[28:31], v[16:17], off
	global_load_dwordx4 v[32:35], v[18:19], off
	;; [unrolled: 1-line block ×3, first 2 shown]
	v_add_co_u32 v53, vcc_lo, v24, s6
	v_mov_b32_e32 v25, v40
	s_clause 0x1
	global_load_dwordx4 v[40:43], v[22:23], off
	global_load_dwordx4 v[44:47], v[26:27], off
	s_mov_b32 s6, 0xe976ee23
	s_mov_b32 s7, 0xbfe11646
	v_add_co_ci_u32_e32 v54, vcc_lo, s1, v25, vcc_lo
	s_clause 0x1
	global_load_dwordx4 v[20:23], v76, s[12:13] offset:768
	global_load_dwordx4 v[16:19], v76, s[12:13] offset:960
	global_load_dwordx4 v[49:52], v[24:25], off
	global_load_dwordx4 v[24:27], v76, s[12:13] offset:1152
	global_load_dwordx4 v[53:56], v[53:54], off
	s_load_dwordx4 s[8:11], s[2:3], 0x0
	s_mov_b32 s0, 0x37e14327
	s_mov_b32 s1, 0x3fe948f6
	;; [unrolled: 1-line block ×4, first 2 shown]
	v_cmp_gt_u16_e32 vcc_lo, 6, v48
	s_waitcnt vmcnt(9)
	v_mul_f64 v[57:58], v[30:31], v[14:15]
	v_mul_f64 v[59:60], v[28:29], v[14:15]
	s_waitcnt vmcnt(8)
	v_mul_f64 v[61:62], v[34:35], v[10:11]
	v_mul_f64 v[63:64], v[32:33], v[10:11]
	;; [unrolled: 3-line block ×7, first 2 shown]
	v_fma_f64 v[28:29], v[28:29], v[12:13], v[57:58]
	v_fma_f64 v[30:31], v[30:31], v[12:13], -v[59:60]
	v_fma_f64 v[32:33], v[32:33], v[8:9], v[61:62]
	v_fma_f64 v[34:35], v[34:35], v[8:9], -v[63:64]
	;; [unrolled: 2-line block ×7, first 2 shown]
	v_mul_u32_u24_e32 v57, 0x54, v75
	v_lshlrev_b32_e32 v138, 4, v57
	v_add_nc_u32_e32 v137, v76, v138
	ds_write_b128 v137, v[28:31]
	ds_write_b128 v137, v[32:35] offset:192
	ds_write_b128 v137, v[36:39] offset:384
	;; [unrolled: 1-line block ×6, first 2 shown]
	s_waitcnt lgkmcnt(0)
	s_barrier
	buffer_gl0_inv
	ds_read_b128 v[28:31], v137 offset:192
	ds_read_b128 v[32:35], v137 offset:1152
	ds_read_b128 v[36:39], v137 offset:960
	ds_read_b128 v[40:43], v137 offset:384
	ds_read_b128 v[44:47], v137 offset:768
	ds_read_b128 v[49:52], v137 offset:576
	s_waitcnt lgkmcnt(4)
	v_add_f64 v[53:54], v[28:29], v[32:33]
	v_add_f64 v[55:56], v[30:31], v[34:35]
	s_waitcnt lgkmcnt(2)
	v_add_f64 v[57:58], v[40:41], v[36:37]
	v_add_f64 v[59:60], v[42:43], v[38:39]
	;; [unrolled: 3-line block ×3, first 2 shown]
	v_add_f64 v[36:37], v[40:41], -v[36:37]
	v_add_f64 v[38:39], v[42:43], -v[38:39]
	;; [unrolled: 1-line block ×6, first 2 shown]
	ds_read_b128 v[28:31], v137
	s_waitcnt lgkmcnt(0)
	s_barrier
	buffer_gl0_inv
	v_add_f64 v[32:33], v[57:58], v[53:54]
	v_add_f64 v[34:35], v[59:60], v[55:56]
	v_add_f64 v[49:50], v[53:54], -v[61:62]
	v_add_f64 v[51:52], v[55:56], -v[63:64]
	;; [unrolled: 1-line block ×10, first 2 shown]
	v_add_f64 v[36:37], v[40:41], v[36:37]
	v_add_f64 v[38:39], v[42:43], v[38:39]
	v_add_f64 v[40:41], v[44:45], -v[40:41]
	v_add_f64 v[42:43], v[46:47], -v[42:43]
	v_add_f64 v[61:62], v[61:62], v[32:33]
	v_add_f64 v[63:64], v[63:64], v[34:35]
	v_mul_f64 v[49:50], v[49:50], s[0:1]
	v_mul_f64 v[51:52], v[51:52], s[0:1]
	s_mov_b32 s0, 0x429ad128
	v_mul_f64 v[57:58], v[65:66], s[2:3]
	v_mul_f64 v[59:60], v[67:68], s[2:3]
	;; [unrolled: 1-line block ×4, first 2 shown]
	s_mov_b32 s1, 0x3febfeb5
	s_mov_b32 s6, 0xaaaaaaaa
	v_mul_f64 v[79:80], v[73:74], s[0:1]
	v_mul_f64 v[81:82], v[77:78], s[0:1]
	s_mov_b32 s7, 0xbff2aaaa
	v_add_f64 v[32:33], v[28:29], v[61:62]
	v_add_f64 v[34:35], v[30:31], v[63:64]
	;; [unrolled: 1-line block ×4, first 2 shown]
	v_fma_f64 v[36:37], v[65:66], s[2:3], v[49:50]
	v_fma_f64 v[44:45], v[53:54], s[16:17], -v[57:58]
	v_fma_f64 v[46:47], v[55:56], s[16:17], -v[59:60]
	s_mov_b32 s17, 0xbfe77f67
	v_fma_f64 v[57:58], v[40:41], s[18:19], v[69:70]
	v_fma_f64 v[59:60], v[42:43], s[18:19], v[71:72]
	s_mov_b32 s19, 0xbfd5d0dc
	v_fma_f64 v[38:39], v[67:68], s[2:3], v[51:52]
	v_fma_f64 v[65:66], v[73:74], s[0:1], -v[69:70]
	v_fma_f64 v[67:68], v[77:78], s[0:1], -v[71:72]
	v_fma_f64 v[40:41], v[40:41], s[18:19], -v[79:80]
	v_fma_f64 v[42:43], v[42:43], s[18:19], -v[81:82]
	v_fma_f64 v[49:50], v[53:54], s[16:17], -v[49:50]
	v_fma_f64 v[51:52], v[55:56], s[16:17], -v[51:52]
	s_mov_b32 s0, 0x37c3f68c
	s_mov_b32 s1, 0x3fdc38aa
	s_load_dwordx2 s[2:3], s[4:5], 0x38
	v_fma_f64 v[61:62], v[61:62], s[6:7], v[32:33]
	v_fma_f64 v[63:64], v[63:64], s[6:7], v[34:35]
	v_fma_f64 v[57:58], v[28:29], s[0:1], v[57:58]
	v_fma_f64 v[59:60], v[30:31], s[0:1], v[59:60]
	v_fma_f64 v[53:54], v[28:29], s[0:1], v[65:66]
	v_fma_f64 v[55:56], v[30:31], s[0:1], v[67:68]
	v_fma_f64 v[28:29], v[28:29], s[0:1], v[40:41]
	v_fma_f64 v[30:31], v[30:31], s[0:1], v[42:43]
	v_add_f64 v[65:66], v[36:37], v[61:62]
	v_add_f64 v[67:68], v[38:39], v[63:64]
	;; [unrolled: 1-line block ×7, first 2 shown]
	v_add_f64 v[38:39], v[67:68], -v[57:58]
	v_add_f64 v[40:41], v[69:70], v[30:31]
	v_add_f64 v[42:43], v[71:72], -v[28:29]
	v_add_f64 v[44:45], v[49:50], -v[55:56]
	v_add_f64 v[46:47], v[53:54], v[51:52]
	v_add_f64 v[49:50], v[49:50], v[55:56]
	v_add_f64 v[51:52], v[51:52], -v[53:54]
	v_add_f64 v[53:54], v[69:70], -v[30:31]
	v_add_f64 v[55:56], v[28:29], v[71:72]
	v_add_f64 v[28:29], v[65:66], -v[59:60]
	v_add_f64 v[30:31], v[57:58], v[67:68]
	v_mul_lo_u16 v57, v48, 7
                                        ; implicit-def: $vgpr72_vgpr73
	v_and_b32_e32 v57, 0xffff, v57
	v_lshl_add_u32 v139, v57, 4, v138
	ds_write_b128 v139, v[32:35]
	ds_write_b128 v139, v[36:39] offset:16
	ds_write_b128 v139, v[40:43] offset:32
	;; [unrolled: 1-line block ×6, first 2 shown]
	s_waitcnt lgkmcnt(0)
	s_barrier
	buffer_gl0_inv
	ds_read_b128 v[32:35], v137
	ds_read_b128 v[36:39], v137 offset:192
	ds_read_b128 v[44:47], v137 offset:672
	;; [unrolled: 1-line block ×5, first 2 shown]
	s_and_saveexec_b32 s0, vcc_lo
	s_cbranch_execz .LBB0_3
; %bb.2:
	ds_read_b128 v[28:31], v137 offset:576
	ds_read_b128 v[72:75], v137 offset:1248
.LBB0_3:
	s_or_b32 exec_lo, exec_lo, s0
	v_add_co_u32 v77, null, v135, 12
	v_add_nc_u16 v50, v135, 24
	v_add_nc_u16 v51, v135, 36
	v_add_co_u32 v56, s0, v135, -7
	v_and_b32_e32 v48, 0xff, v77
	v_and_b32_e32 v49, 0xff, v50
	;; [unrolled: 1-line block ×3, first 2 shown]
	v_add_co_ci_u32_e64 v57, null, 0, -1, s0
	v_mul_lo_u16 v48, v48, 37
	v_mul_lo_u16 v49, v49, 37
	;; [unrolled: 1-line block ×3, first 2 shown]
	v_cmp_gt_u16_e64 s0, 7, v135
	v_lshrrev_b16 v48, 8, v48
	v_lshrrev_b16 v49, 8, v49
	;; [unrolled: 1-line block ×3, first 2 shown]
	v_cndmask_b32_e64 v79, v57, 0, s0
	v_cndmask_b32_e64 v78, v56, v135, s0
	v_sub_nc_u16 v53, v77, v48
	v_sub_nc_u16 v54, v50, v49
	;; [unrolled: 1-line block ×3, first 2 shown]
	v_lshrrev_b16 v53, 1, v53
	v_lshrrev_b16 v54, 1, v54
	v_lshrrev_b16 v55, 1, v55
	v_and_b32_e32 v53, 0x7f, v53
	v_and_b32_e32 v54, 0x7f, v54
	;; [unrolled: 1-line block ×3, first 2 shown]
	v_add_nc_u16 v48, v53, v48
	v_add_nc_u16 v49, v54, v49
	v_add_nc_u16 v52, v55, v52
	v_mov_b32_e32 v55, 4
	v_lshrrev_b16 v96, 2, v48
	v_lshrrev_b16 v97, 2, v49
	;; [unrolled: 1-line block ×3, first 2 shown]
	v_mul_lo_u16 v52, v96, 7
	v_mul_lo_u16 v53, v97, 7
	;; [unrolled: 1-line block ×3, first 2 shown]
	v_lshlrev_b64 v[48:49], 4, v[78:79]
	v_sub_nc_u16 v98, v77, v52
	v_sub_nc_u16 v99, v50, v53
	;; [unrolled: 1-line block ×3, first 2 shown]
	v_add_co_u32 v48, s0, s14, v48
	v_add_co_ci_u32_e64 v49, s0, s15, v49, s0
	v_and_b32_e32 v140, 0xff, v50
	v_lshlrev_b32_sdwa v50, v55, v98 dst_sel:DWORD dst_unused:UNUSED_PAD src0_sel:DWORD src1_sel:BYTE_0
	v_lshlrev_b32_sdwa v51, v55, v99 dst_sel:DWORD dst_unused:UNUSED_PAD src0_sel:DWORD src1_sel:BYTE_0
	global_load_dwordx4 v[56:59], v[48:49], off
	v_cmp_lt_u16_e64 s0, 6, v135
	v_lshlrev_b32_e32 v48, 4, v140
	s_clause 0x2
	global_load_dwordx4 v[60:63], v50, s[14:15]
	global_load_dwordx4 v[52:55], v51, s[14:15]
	;; [unrolled: 1-line block ×3, first 2 shown]
	s_waitcnt vmcnt(0) lgkmcnt(0)
	s_barrier
	buffer_gl0_inv
	v_mul_f64 v[79:80], v[46:47], v[58:59]
	v_mul_f64 v[81:82], v[44:45], v[58:59]
	;; [unrolled: 1-line block ×8, first 2 shown]
	v_fma_f64 v[44:45], v[44:45], v[56:57], -v[79:80]
	v_fma_f64 v[46:47], v[46:47], v[56:57], v[81:82]
	v_fma_f64 v[68:69], v[68:69], v[60:61], -v[83:84]
	v_fma_f64 v[70:71], v[70:71], v[60:61], v[85:86]
	;; [unrolled: 2-line block ×4, first 2 shown]
	v_add_f64 v[44:45], v[32:33], -v[44:45]
	v_add_f64 v[46:47], v[34:35], -v[46:47]
	;; [unrolled: 1-line block ×8, first 2 shown]
	v_fma_f64 v[32:33], v[32:33], 2.0, -v[44:45]
	v_fma_f64 v[34:35], v[34:35], 2.0, -v[46:47]
	;; [unrolled: 1-line block ×8, first 2 shown]
	v_cndmask_b32_e64 v28, 0, 14, s0
	v_mad_u16 v29, v96, 14, v98
	v_mad_u16 v30, v97, 14, v99
	v_add_nc_u32_e32 v28, v78, v28
	v_and_b32_e32 v29, 0xff, v29
	v_and_b32_e32 v30, 0xff, v30
	v_lshl_add_u32 v144, v28, 4, v138
	v_lshl_add_u32 v143, v29, 4, v138
	;; [unrolled: 1-line block ×3, first 2 shown]
	ds_write_b128 v144, v[32:35]
	ds_write_b128 v144, v[44:47] offset:112
	ds_write_b128 v143, v[36:39]
	ds_write_b128 v143, v[64:67] offset:112
	;; [unrolled: 2-line block ×3, first 2 shown]
	s_and_saveexec_b32 s0, vcc_lo
	s_cbranch_execz .LBB0_5
; %bb.4:
	v_lshl_add_u32 v28, v140, 4, v138
	ds_write_b128 v28, v[84:87] offset:1120
	ds_write_b128 v28, v[92:95] offset:1232
.LBB0_5:
	s_or_b32 exec_lo, exec_lo, s0
	s_waitcnt lgkmcnt(0)
	s_barrier
	buffer_gl0_inv
	ds_read_b128 v[88:91], v137
	ds_read_b128 v[112:115], v137 offset:224
	ds_read_b128 v[96:99], v137 offset:448
	;; [unrolled: 1-line block ×5, first 2 shown]
	v_add_co_u32 v133, s0, s12, v76
	v_add_co_ci_u32_e64 v134, null, s13, 0, s0
	v_cmp_gt_u16_e64 s0, 2, v135
                                        ; implicit-def: $vgpr104_vgpr105
                                        ; implicit-def: $vgpr124_vgpr125
                                        ; implicit-def: $vgpr108_vgpr109
                                        ; implicit-def: $vgpr128_vgpr129
	s_and_saveexec_b32 s1, s0
	s_cbranch_execz .LBB0_7
; %bb.6:
	ds_read_b128 v[84:87], v137 offset:192
	ds_read_b128 v[92:95], v137 offset:416
	;; [unrolled: 1-line block ×6, first 2 shown]
.LBB0_7:
	s_or_b32 exec_lo, exec_lo, s1
	v_add_nc_u32_e32 v28, -2, v135
	v_mad_u64_u32 v[32:33], null, 0x50, v135, s[14:15]
	s_mov_b32 s4, 0xe8584caa
	s_mov_b32 s5, 0x3febb67a
	v_cndmask_b32_e64 v28, v28, v77, s0
	s_mov_b32 s7, 0xbfebb67a
	s_mov_b32 s6, s4
	v_lshl_add_u32 v141, v135, 4, v138
	s_clause 0x1
	global_load_dwordx4 v[64:67], v[32:33], off offset:144
	global_load_dwordx4 v[68:71], v[32:33], off offset:176
	v_mul_i32_i24_e32 v29, 0x50, v28
	v_mul_hi_i32_i24_e32 v28, 0x50, v28
	v_add_co_u32 v34, s1, s14, v29
	v_add_co_ci_u32_e64 v35, s1, s15, v28, s1
	s_clause 0x7
	global_load_dwordx4 v[28:31], v[34:35], off offset:144
	global_load_dwordx4 v[44:47], v[34:35], off offset:176
	;; [unrolled: 1-line block ×8, first 2 shown]
	s_waitcnt vmcnt(9) lgkmcnt(2)
	v_mul_f64 v[145:146], v[122:123], v[66:67]
	v_mul_f64 v[147:148], v[120:121], v[66:67]
	s_waitcnt vmcnt(8) lgkmcnt(0)
	v_mul_f64 v[149:150], v[116:117], v[70:71]
	v_mul_f64 v[151:152], v[118:119], v[70:71]
	s_waitcnt vmcnt(7)
	v_mul_f64 v[153:154], v[126:127], v[30:31]
	v_mul_f64 v[155:156], v[124:125], v[30:31]
	s_waitcnt vmcnt(6)
	;; [unrolled: 3-line block ×4, first 2 shown]
	v_mul_f64 v[165:166], v[110:111], v[34:35]
	v_mul_f64 v[167:168], v[108:109], v[34:35]
	v_fma_f64 v[120:121], v[120:121], v[64:65], -v[145:146]
	v_fma_f64 v[122:123], v[122:123], v[64:65], v[147:148]
	v_fma_f64 v[118:119], v[118:119], v[68:69], v[149:150]
	v_fma_f64 v[116:117], v[116:117], v[68:69], -v[151:152]
	v_mul_f64 v[145:146], v[94:95], v[42:43]
	v_mul_f64 v[147:148], v[92:93], v[42:43]
	;; [unrolled: 1-line block ×3, first 2 shown]
	v_fma_f64 v[124:125], v[124:125], v[28:29], -v[153:154]
	v_fma_f64 v[126:127], v[126:127], v[28:29], v[155:156]
	v_fma_f64 v[130:131], v[130:131], v[44:45], v[157:158]
	v_fma_f64 v[128:129], v[128:129], v[44:45], -v[159:160]
	v_mul_f64 v[151:152], v[96:97], v[82:83]
	v_mul_f64 v[153:154], v[102:103], v[78:79]
	v_mul_f64 v[155:156], v[100:101], v[78:79]
	v_fma_f64 v[112:113], v[112:113], v[72:73], -v[161:162]
	v_fma_f64 v[114:115], v[114:115], v[72:73], v[163:164]
	v_mul_f64 v[161:162], v[106:107], v[38:39]
	v_mul_f64 v[163:164], v[104:105], v[38:39]
	v_fma_f64 v[108:109], v[108:109], v[32:33], -v[165:166]
	v_fma_f64 v[110:111], v[110:111], v[32:33], v[167:168]
	v_add_f64 v[157:158], v[122:123], v[118:119]
	v_add_f64 v[159:160], v[120:121], v[116:117]
	v_fma_f64 v[92:93], v[92:93], v[40:41], -v[145:146]
	v_fma_f64 v[94:95], v[94:95], v[40:41], v[147:148]
	v_fma_f64 v[96:97], v[96:97], v[80:81], -v[149:150]
	v_add_f64 v[149:150], v[122:123], -v[118:119]
	v_add_f64 v[145:146], v[126:127], v[130:131]
	v_add_f64 v[147:148], v[124:125], v[128:129]
	v_fma_f64 v[98:99], v[98:99], v[80:81], v[151:152]
	v_fma_f64 v[100:101], v[100:101], v[76:77], -v[153:154]
	v_fma_f64 v[102:103], v[102:103], v[76:77], v[155:156]
	v_add_f64 v[151:152], v[120:121], -v[116:117]
	v_fma_f64 v[104:105], v[104:105], v[36:37], -v[161:162]
	v_fma_f64 v[106:107], v[106:107], v[36:37], v[163:164]
	v_fma_f64 v[153:154], v[157:158], -0.5, v[114:115]
	v_fma_f64 v[155:156], v[159:160], -0.5, v[112:113]
	v_add_f64 v[157:158], v[126:127], -v[130:131]
	v_add_f64 v[159:160], v[124:125], -v[128:129]
	v_add_f64 v[165:166], v[88:89], v[96:97]
	v_add_f64 v[112:113], v[112:113], v[120:121]
	;; [unrolled: 1-line block ×3, first 2 shown]
	v_fma_f64 v[145:146], v[145:146], -0.5, v[94:95]
	v_fma_f64 v[147:148], v[147:148], -0.5, v[92:93]
	v_add_f64 v[167:168], v[90:91], v[98:99]
	v_add_f64 v[161:162], v[96:97], v[100:101]
	v_add_f64 v[163:164], v[98:99], v[102:103]
	v_add_f64 v[98:99], v[98:99], -v[102:103]
	v_add_f64 v[96:97], v[96:97], -v[100:101]
	v_add_f64 v[92:93], v[92:93], v[124:125]
	v_add_f64 v[120:121], v[106:107], v[110:111]
	;; [unrolled: 1-line block ×3, first 2 shown]
	v_add_f64 v[124:125], v[106:107], -v[110:111]
	v_add_f64 v[126:127], v[104:105], -v[108:109]
	v_fma_f64 v[169:170], v[151:152], s[6:7], v[153:154]
	v_fma_f64 v[171:172], v[149:150], s[6:7], v[155:156]
	;; [unrolled: 1-line block ×4, first 2 shown]
	v_add_f64 v[153:154], v[104:105], v[108:109]
	v_add_f64 v[100:101], v[165:166], v[100:101]
	;; [unrolled: 1-line block ×3, first 2 shown]
	v_fma_f64 v[122:123], v[159:160], s[6:7], v[145:146]
	v_fma_f64 v[155:156], v[157:158], s[6:7], v[147:148]
	;; [unrolled: 1-line block ×4, first 2 shown]
	v_add_f64 v[157:158], v[84:85], v[104:105]
	v_add_f64 v[159:160], v[86:87], v[106:107]
	v_fma_f64 v[88:89], v[161:162], -0.5, v[88:89]
	v_fma_f64 v[90:91], v[163:164], -0.5, v[90:91]
	;; [unrolled: 1-line block ×3, first 2 shown]
	v_add_f64 v[102:103], v[167:168], v[102:103]
	v_add_f64 v[118:119], v[114:115], v[118:119]
	;; [unrolled: 1-line block ×3, first 2 shown]
	v_mul_f64 v[161:162], v[169:170], s[4:5]
	v_mul_f64 v[163:164], v[171:172], -0.5
	v_mul_f64 v[173:174], v[149:150], s[6:7]
	v_mul_f64 v[175:176], v[151:152], -0.5
	v_fma_f64 v[84:85], v[153:154], -0.5, v[84:85]
	v_add_f64 v[112:113], v[100:101], v[116:117]
	v_mul_f64 v[120:121], v[122:123], s[4:5]
	v_mul_f64 v[153:154], v[155:156], -0.5
	v_mul_f64 v[165:166], v[147:148], s[6:7]
	v_mul_f64 v[167:168], v[145:146], -0.5
	v_add_f64 v[104:105], v[157:158], v[108:109]
	v_add_f64 v[108:109], v[159:160], v[110:111]
	;; [unrolled: 1-line block ×3, first 2 shown]
	v_fma_f64 v[92:93], v[98:99], s[4:5], v[88:89]
	v_fma_f64 v[94:95], v[98:99], s[6:7], v[88:89]
	;; [unrolled: 1-line block ×4, first 2 shown]
	v_add_f64 v[114:115], v[102:103], v[118:119]
	v_add_f64 v[116:117], v[100:101], -v[116:117]
	v_add_f64 v[118:119], v[102:103], -v[118:119]
	v_fma_f64 v[128:129], v[149:150], 0.5, v[161:162]
	v_fma_f64 v[130:131], v[151:152], s[4:5], v[163:164]
	v_fma_f64 v[149:150], v[169:170], 0.5, v[173:174]
	v_fma_f64 v[151:152], v[171:172], s[6:7], v[175:176]
	v_fma_f64 v[157:158], v[124:125], s[4:5], v[84:85]
	;; [unrolled: 1-line block ×5, first 2 shown]
	v_fma_f64 v[169:170], v[147:148], 0.5, v[120:121]
	v_fma_f64 v[153:154], v[145:146], s[4:5], v[153:154]
	v_fma_f64 v[165:166], v[122:123], 0.5, v[165:166]
	v_fma_f64 v[155:156], v[155:156], s[6:7], v[167:168]
	v_add_f64 v[88:89], v[104:105], -v[106:107]
	v_add_f64 v[90:91], v[108:109], -v[110:111]
	v_add_f64 v[120:121], v[92:93], v[128:129]
	v_add_f64 v[124:125], v[94:95], v[130:131]
	;; [unrolled: 1-line block ×4, first 2 shown]
	v_add_f64 v[128:129], v[92:93], -v[128:129]
	v_add_f64 v[145:146], v[94:95], -v[130:131]
	;; [unrolled: 1-line block ×4, first 2 shown]
	v_add_f64 v[100:101], v[157:158], v[169:170]
	v_add_f64 v[84:85], v[159:160], v[153:154]
	v_add_f64 v[102:103], v[161:162], v[165:166]
	v_add_f64 v[86:87], v[163:164], v[155:156]
	v_add_f64 v[92:93], v[157:158], -v[169:170]
	v_add_f64 v[96:97], v[159:160], -v[153:154]
	;; [unrolled: 1-line block ×4, first 2 shown]
	ds_write_b128 v137, v[112:115]
	ds_write_b128 v141, v[120:123] offset:224
	ds_write_b128 v141, v[124:127] offset:448
	;; [unrolled: 1-line block ×5, first 2 shown]
	s_and_saveexec_b32 s1, s0
	s_cbranch_execz .LBB0_9
; %bb.8:
	v_add_f64 v[108:109], v[108:109], v[110:111]
	v_add_f64 v[106:107], v[104:105], v[106:107]
	ds_write_b128 v137, v[106:109] offset:192
	ds_write_b128 v141, v[100:103] offset:416
	;; [unrolled: 1-line block ×6, first 2 shown]
.LBB0_9:
	s_or_b32 exec_lo, exec_lo, s1
	v_lshlrev_b32_e32 v128, 4, v135
	s_add_u32 s4, s12, 0x540
	s_addc_u32 s5, s13, 0
	s_waitcnt lgkmcnt(0)
	s_barrier
	buffer_gl0_inv
	s_clause 0x6
	global_load_dwordx4 v[104:107], v[133:134], off offset:1344
	global_load_dwordx4 v[108:111], v128, s[4:5] offset:192
	global_load_dwordx4 v[112:115], v128, s[4:5] offset:384
	global_load_dwordx4 v[116:119], v128, s[4:5] offset:576
	global_load_dwordx4 v[120:123], v128, s[4:5] offset:768
	global_load_dwordx4 v[124:127], v128, s[4:5] offset:960
	global_load_dwordx4 v[128:131], v128, s[4:5] offset:1152
	ds_read_b128 v[145:148], v137
	ds_read_b128 v[149:152], v137 offset:192
	ds_read_b128 v[153:156], v137 offset:384
	;; [unrolled: 1-line block ×6, first 2 shown]
	s_mov_b32 s4, 0x37e14327
	s_mov_b32 s5, 0x3fe948f6
	;; [unrolled: 1-line block ×10, first 2 shown]
	s_waitcnt vmcnt(6) lgkmcnt(6)
	v_mul_f64 v[133:134], v[147:148], v[106:107]
	v_mul_f64 v[106:107], v[145:146], v[106:107]
	s_waitcnt vmcnt(5) lgkmcnt(5)
	v_mul_f64 v[173:174], v[151:152], v[110:111]
	v_mul_f64 v[110:111], v[149:150], v[110:111]
	;; [unrolled: 3-line block ×7, first 2 shown]
	v_fma_f64 v[145:146], v[145:146], v[104:105], -v[133:134]
	v_fma_f64 v[147:148], v[147:148], v[104:105], v[106:107]
	v_fma_f64 v[104:105], v[149:150], v[108:109], -v[173:174]
	v_fma_f64 v[106:107], v[151:152], v[108:109], v[110:111]
	;; [unrolled: 2-line block ×7, first 2 shown]
	ds_write_b128 v137, v[145:148]
	ds_write_b128 v137, v[104:107] offset:192
	ds_write_b128 v137, v[108:111] offset:384
	;; [unrolled: 1-line block ×6, first 2 shown]
	s_waitcnt lgkmcnt(0)
	s_barrier
	buffer_gl0_inv
	ds_read_b128 v[104:107], v137 offset:192
	ds_read_b128 v[108:111], v137 offset:1152
	;; [unrolled: 1-line block ×6, first 2 shown]
	s_waitcnt lgkmcnt(4)
	v_add_f64 v[128:129], v[104:105], v[108:109]
	v_add_f64 v[130:131], v[106:107], v[110:111]
	s_waitcnt lgkmcnt(2)
	v_add_f64 v[133:134], v[116:117], v[112:113]
	v_add_f64 v[145:146], v[118:119], v[114:115]
	;; [unrolled: 3-line block ×3, first 2 shown]
	v_add_f64 v[112:113], v[116:117], -v[112:113]
	v_add_f64 v[114:115], v[118:119], -v[114:115]
	;; [unrolled: 1-line block ×6, first 2 shown]
	ds_read_b128 v[104:107], v137
	s_waitcnt lgkmcnt(0)
	s_barrier
	buffer_gl0_inv
	v_add_f64 v[108:109], v[133:134], v[128:129]
	v_add_f64 v[110:111], v[145:146], v[130:131]
	v_add_f64 v[124:125], v[128:129], -v[147:148]
	v_add_f64 v[126:127], v[130:131], -v[149:150]
	;; [unrolled: 1-line block ×10, first 2 shown]
	v_add_f64 v[112:113], v[116:117], v[112:113]
	v_add_f64 v[114:115], v[118:119], v[114:115]
	v_add_f64 v[116:117], v[120:121], -v[116:117]
	v_add_f64 v[118:119], v[122:123], -v[118:119]
	v_add_f64 v[147:148], v[147:148], v[108:109]
	v_add_f64 v[149:150], v[149:150], v[110:111]
	v_mul_f64 v[124:125], v[124:125], s[4:5]
	v_mul_f64 v[126:127], v[126:127], s[4:5]
	s_mov_b32 s4, 0x429ad128
	v_mul_f64 v[133:134], v[151:152], s[6:7]
	v_mul_f64 v[145:146], v[153:154], s[6:7]
	;; [unrolled: 1-line block ×4, first 2 shown]
	s_mov_b32 s5, 0xbfebfeb5
	s_mov_b32 s12, 0xaaaaaaaa
	v_mul_f64 v[163:164], v[159:160], s[4:5]
	v_mul_f64 v[165:166], v[161:162], s[4:5]
	s_mov_b32 s13, 0xbff2aaaa
	v_add_f64 v[108:109], v[104:105], v[147:148]
	v_add_f64 v[110:111], v[106:107], v[149:150]
	;; [unrolled: 1-line block ×4, first 2 shown]
	v_fma_f64 v[112:113], v[151:152], s[6:7], v[124:125]
	v_fma_f64 v[120:121], v[128:129], s[14:15], -v[133:134]
	v_fma_f64 v[122:123], v[130:131], s[14:15], -v[145:146]
	s_mov_b32 s15, 0xbfe77f67
	v_fma_f64 v[133:134], v[116:117], s[16:17], v[155:156]
	v_fma_f64 v[145:146], v[118:119], s[16:17], v[157:158]
	s_mov_b32 s17, 0x3fd5d0dc
	v_fma_f64 v[114:115], v[153:154], s[6:7], v[126:127]
	v_fma_f64 v[151:152], v[159:160], s[4:5], -v[155:156]
	v_fma_f64 v[153:154], v[161:162], s[4:5], -v[157:158]
	;; [unrolled: 1-line block ×6, first 2 shown]
	s_mov_b32 s4, 0x37c3f68c
	s_mov_b32 s5, 0xbfdc38aa
	v_fma_f64 v[147:148], v[147:148], s[12:13], v[108:109]
	v_fma_f64 v[149:150], v[149:150], s[12:13], v[110:111]
	;; [unrolled: 1-line block ×8, first 2 shown]
	v_add_f64 v[151:152], v[112:113], v[147:148]
	v_add_f64 v[153:154], v[114:115], v[149:150]
	;; [unrolled: 1-line block ×7, first 2 shown]
	v_add_f64 v[114:115], v[153:154], -v[133:134]
	v_add_f64 v[116:117], v[155:156], v[106:107]
	v_add_f64 v[118:119], v[157:158], -v[104:105]
	v_add_f64 v[120:121], v[124:125], -v[130:131]
	v_add_f64 v[122:123], v[128:129], v[126:127]
	v_add_f64 v[124:125], v[124:125], v[130:131]
	v_add_f64 v[126:127], v[126:127], -v[128:129]
	v_add_f64 v[128:129], v[155:156], -v[106:107]
	v_add_f64 v[130:131], v[104:105], v[157:158]
	v_add_f64 v[104:105], v[151:152], -v[145:146]
	v_add_f64 v[106:107], v[133:134], v[153:154]
	ds_write_b128 v139, v[108:111]
	ds_write_b128 v139, v[112:115] offset:16
	ds_write_b128 v139, v[116:119] offset:32
	;; [unrolled: 1-line block ×6, first 2 shown]
	s_waitcnt lgkmcnt(0)
	s_barrier
	buffer_gl0_inv
	ds_read_b128 v[108:111], v137
	ds_read_b128 v[112:115], v137 offset:192
	ds_read_b128 v[120:123], v137 offset:672
	;; [unrolled: 1-line block ×5, first 2 shown]
	s_and_saveexec_b32 s1, vcc_lo
	s_cbranch_execz .LBB0_11
; %bb.10:
	ds_read_b128 v[104:107], v141 offset:576
	ds_read_b128 v[100:103], v137 offset:1248
.LBB0_11:
	s_or_b32 exec_lo, exec_lo, s1
	s_waitcnt lgkmcnt(0)
	v_mul_f64 v[147:148], v[54:55], v[126:127]
	v_mul_f64 v[54:55], v[54:55], v[124:125]
	;; [unrolled: 1-line block ×8, first 2 shown]
	s_barrier
	buffer_gl0_inv
	v_fma_f64 v[124:125], v[52:53], v[124:125], v[147:148]
	v_fma_f64 v[52:53], v[52:53], v[126:127], -v[54:55]
	v_fma_f64 v[54:55], v[48:49], v[100:101], v[149:150]
	v_fma_f64 v[48:49], v[48:49], v[102:103], -v[50:51]
	;; [unrolled: 2-line block ×4, first 2 shown]
	v_add_f64 v[100:101], v[116:117], -v[124:125]
	v_add_f64 v[102:103], v[118:119], -v[52:53]
	;; [unrolled: 1-line block ×8, first 2 shown]
	v_fma_f64 v[116:117], v[116:117], 2.0, -v[100:101]
	v_fma_f64 v[118:119], v[118:119], 2.0, -v[102:103]
	;; [unrolled: 1-line block ×8, first 2 shown]
	ds_write_b128 v144, v[56:59] offset:112
	ds_write_b128 v144, v[108:111]
	ds_write_b128 v143, v[112:115]
	ds_write_b128 v143, v[60:63] offset:112
	ds_write_b128 v142, v[116:119]
	ds_write_b128 v142, v[100:103] offset:112
	s_and_saveexec_b32 s1, vcc_lo
	s_cbranch_execz .LBB0_13
; %bb.12:
	v_lshl_add_u32 v56, v140, 4, v138
	ds_write_b128 v56, v[48:51] offset:1120
	ds_write_b128 v56, v[52:55] offset:1232
.LBB0_13:
	s_or_b32 exec_lo, exec_lo, s1
	s_waitcnt lgkmcnt(0)
	s_barrier
	buffer_gl0_inv
	ds_read_b128 v[56:59], v137
	ds_read_b128 v[60:63], v137 offset:224
	ds_read_b128 v[100:103], v137 offset:448
	;; [unrolled: 1-line block ×5, first 2 shown]
	s_and_saveexec_b32 s1, s0
	s_cbranch_execz .LBB0_15
; %bb.14:
	ds_read_b128 v[48:51], v137 offset:192
	ds_read_b128 v[52:55], v137 offset:416
	;; [unrolled: 1-line block ×6, first 2 shown]
.LBB0_15:
	s_or_b32 exec_lo, exec_lo, s1
	s_waitcnt lgkmcnt(2)
	v_mul_f64 v[116:117], v[66:67], v[108:109]
	s_waitcnt lgkmcnt(0)
	v_mul_f64 v[118:119], v[70:71], v[112:113]
	v_mul_f64 v[120:121], v[74:75], v[60:61]
	;; [unrolled: 1-line block ×5, first 2 shown]
	s_mov_b32 s4, 0xe8584caa
	s_mov_b32 s5, 0xbfebb67a
	;; [unrolled: 1-line block ×4, first 2 shown]
	v_fma_f64 v[110:111], v[64:65], v[110:111], -v[116:117]
	v_fma_f64 v[114:115], v[68:69], v[114:115], -v[118:119]
	v_mul_f64 v[116:117], v[82:83], v[102:103]
	v_mul_f64 v[82:83], v[82:83], v[100:101]
	;; [unrolled: 1-line block ×4, first 2 shown]
	v_fma_f64 v[64:65], v[64:65], v[108:109], v[66:67]
	v_fma_f64 v[66:67], v[68:69], v[112:113], v[70:71]
	v_fma_f64 v[62:63], v[72:73], v[62:63], -v[120:121]
	v_fma_f64 v[60:61], v[72:73], v[60:61], v[74:75]
	v_add_f64 v[68:69], v[110:111], v[114:115]
	v_fma_f64 v[70:71], v[80:81], v[100:101], v[116:117]
	v_fma_f64 v[80:81], v[80:81], v[102:103], -v[82:83]
	v_fma_f64 v[82:83], v[76:77], v[104:105], v[118:119]
	v_fma_f64 v[76:77], v[76:77], v[106:107], -v[78:79]
	v_add_f64 v[102:103], v[110:111], -v[114:115]
	v_add_f64 v[72:73], v[64:65], v[66:67]
	v_add_f64 v[74:75], v[64:65], -v[66:67]
	v_fma_f64 v[68:69], v[68:69], -0.5, v[62:63]
	v_add_f64 v[62:63], v[62:63], v[110:111]
	v_add_f64 v[78:79], v[70:71], v[82:83]
	;; [unrolled: 1-line block ×3, first 2 shown]
	v_add_f64 v[106:107], v[80:81], -v[76:77]
	v_fma_f64 v[72:73], v[72:73], -0.5, v[60:61]
	v_add_f64 v[80:81], v[58:59], v[80:81]
	v_add_f64 v[60:61], v[60:61], v[64:65]
	v_fma_f64 v[104:105], v[74:75], s[6:7], v[68:69]
	v_fma_f64 v[68:69], v[74:75], s[4:5], v[68:69]
	v_add_f64 v[74:75], v[56:57], v[70:71]
	v_add_f64 v[70:71], v[70:71], -v[82:83]
	v_fma_f64 v[56:57], v[78:79], -0.5, v[56:57]
	v_fma_f64 v[58:59], v[100:101], -0.5, v[58:59]
	v_fma_f64 v[64:65], v[102:103], s[4:5], v[72:73]
	v_fma_f64 v[72:73], v[102:103], s[6:7], v[72:73]
	v_add_f64 v[76:77], v[80:81], v[76:77]
	v_add_f64 v[60:61], v[60:61], v[66:67]
	;; [unrolled: 1-line block ×3, first 2 shown]
	v_mul_f64 v[78:79], v[104:105], s[4:5]
	v_mul_f64 v[102:103], v[104:105], 0.5
	v_mul_f64 v[100:101], v[68:69], s[4:5]
	v_mul_f64 v[68:69], v[68:69], -0.5
	v_add_f64 v[74:75], v[74:75], v[82:83]
	v_fma_f64 v[80:81], v[106:107], s[4:5], v[56:57]
	v_fma_f64 v[104:105], v[70:71], s[6:7], v[58:59]
	;; [unrolled: 1-line block ×4, first 2 shown]
	v_add_f64 v[58:59], v[76:77], v[62:63]
	v_add_f64 v[62:63], v[76:77], -v[62:63]
	v_fma_f64 v[78:79], v[64:65], 0.5, v[78:79]
	v_fma_f64 v[102:103], v[64:65], s[6:7], v[102:103]
	v_fma_f64 v[100:101], v[72:73], -0.5, v[100:101]
	v_fma_f64 v[108:109], v[72:73], s[6:7], v[68:69]
	v_add_f64 v[56:57], v[74:75], v[60:61]
	v_add_f64 v[60:61], v[74:75], -v[60:61]
	v_add_f64 v[64:65], v[80:81], v[78:79]
	v_add_f64 v[66:67], v[104:105], v[102:103]
	;; [unrolled: 1-line block ×4, first 2 shown]
	v_add_f64 v[72:73], v[80:81], -v[78:79]
	v_add_f64 v[74:75], v[104:105], -v[102:103]
	;; [unrolled: 1-line block ×4, first 2 shown]
	ds_write_b128 v137, v[56:59]
	ds_write_b128 v141, v[60:63] offset:672
	ds_write_b128 v141, v[64:67] offset:224
	;; [unrolled: 1-line block ×5, first 2 shown]
	s_and_saveexec_b32 s1, s0
	s_cbranch_execz .LBB0_17
; %bb.16:
	v_mul_f64 v[56:57], v[30:31], v[88:89]
	v_mul_f64 v[58:59], v[46:47], v[96:97]
	;; [unrolled: 1-line block ×10, first 2 shown]
	v_fma_f64 v[56:57], v[28:29], v[90:91], -v[56:57]
	v_fma_f64 v[58:59], v[44:45], v[98:99], -v[58:59]
	v_fma_f64 v[28:29], v[28:29], v[88:89], v[30:31]
	v_fma_f64 v[30:31], v[44:45], v[96:97], v[46:47]
	v_fma_f64 v[44:45], v[40:41], v[54:55], -v[60:61]
	v_fma_f64 v[54:55], v[36:37], v[86:87], -v[62:63]
	;; [unrolled: 1-line block ×3, first 2 shown]
	v_fma_f64 v[40:41], v[40:41], v[52:53], v[42:43]
	v_fma_f64 v[36:37], v[36:37], v[84:85], v[38:39]
	;; [unrolled: 1-line block ×3, first 2 shown]
	v_add_f64 v[46:47], v[56:57], v[58:59]
	v_add_f64 v[38:39], v[56:57], -v[58:59]
	v_add_f64 v[42:43], v[28:29], v[30:31]
	v_add_f64 v[52:53], v[28:29], -v[30:31]
	v_add_f64 v[66:67], v[50:51], v[54:55]
	v_add_f64 v[34:35], v[54:55], v[60:61]
	;; [unrolled: 1-line block ×3, first 2 shown]
	v_add_f64 v[54:55], v[54:55], -v[60:61]
	v_add_f64 v[64:65], v[36:37], -v[32:33]
	v_fma_f64 v[46:47], v[46:47], -0.5, v[44:45]
	v_add_f64 v[44:45], v[44:45], v[56:57]
	v_fma_f64 v[42:43], v[42:43], -0.5, v[40:41]
	v_add_f64 v[56:57], v[66:67], v[60:61]
	v_fma_f64 v[34:35], v[34:35], -0.5, v[50:51]
	v_fma_f64 v[62:63], v[52:53], s[4:5], v[46:47]
	v_fma_f64 v[46:47], v[52:53], s[6:7], v[46:47]
	v_add_f64 v[52:53], v[36:37], v[32:33]
	v_add_f64 v[36:37], v[48:49], v[36:37]
	v_fma_f64 v[40:41], v[38:39], s[6:7], v[42:43]
	v_fma_f64 v[38:39], v[38:39], s[4:5], v[42:43]
	v_add_f64 v[44:45], v[44:45], v[58:59]
	v_fma_f64 v[58:59], v[64:65], s[4:5], v[34:35]
	v_fma_f64 v[60:61], v[64:65], s[6:7], v[34:35]
	v_mul_f64 v[42:43], v[62:63], -0.5
	v_mul_f64 v[50:51], v[46:47], 0.5
	v_fma_f64 v[48:49], v[52:53], -0.5, v[48:49]
	v_mul_f64 v[46:47], v[46:47], s[4:5]
	v_mul_f64 v[52:53], v[62:63], s[4:5]
	v_add_f64 v[32:33], v[36:37], v[32:33]
	v_add_f64 v[36:37], v[28:29], v[30:31]
	;; [unrolled: 1-line block ×3, first 2 shown]
	v_add_f64 v[30:31], v[56:57], -v[44:45]
	v_fma_f64 v[62:63], v[40:41], s[6:7], v[42:43]
	v_fma_f64 v[50:51], v[38:39], s[6:7], v[50:51]
	;; [unrolled: 1-line block ×4, first 2 shown]
	v_fma_f64 v[66:67], v[38:39], 0.5, v[46:47]
	v_fma_f64 v[52:53], v[40:41], -0.5, v[52:53]
	v_add_f64 v[28:29], v[32:33], -v[36:37]
	v_add_f64 v[32:33], v[32:33], v[36:37]
	v_add_f64 v[46:47], v[58:59], v[62:63]
	v_add_f64 v[42:43], v[60:61], -v[50:51]
	v_add_f64 v[50:51], v[60:61], v[50:51]
	v_add_f64 v[38:39], v[58:59], -v[62:63]
	v_add_f64 v[48:49], v[54:55], v[66:67]
	v_add_f64 v[44:45], v[64:65], v[52:53]
	v_add_f64 v[40:41], v[54:55], -v[66:67]
	v_add_f64 v[36:37], v[64:65], -v[52:53]
	ds_write_b128 v137, v[32:35] offset:192
	ds_write_b128 v141, v[28:31] offset:864
	ds_write_b128 v141, v[48:51] offset:416
	ds_write_b128 v141, v[44:47] offset:640
	ds_write_b128 v141, v[40:43] offset:1088
	ds_write_b128 v141, v[36:39] offset:1312
.LBB0_17:
	s_or_b32 exec_lo, exec_lo, s1
	s_waitcnt lgkmcnt(0)
	s_barrier
	buffer_gl0_inv
	ds_read_b128 v[28:31], v137
	ds_read_b128 v[32:35], v137 offset:192
	ds_read_b128 v[36:39], v137 offset:384
	;; [unrolled: 1-line block ×6, first 2 shown]
	v_mad_u64_u32 v[56:57], null, s10, v132, 0
	v_mad_u64_u32 v[58:59], null, s8, v135, 0
	s_mov_b32 s0, 0x18618618
	s_mul_i32 s4, s9, 0xc0
	s_mul_hi_u32 s5, s8, 0xc0
	s_mul_i32 s6, s8, 0xc0
	s_mov_b32 s1, 0x3f886186
	s_add_i32 s5, s5, s4
	v_mad_u64_u32 v[66:67], null, s11, v132, v[57:58]
	s_waitcnt lgkmcnt(6)
	v_mul_f64 v[60:61], v[14:15], v[30:31]
	v_mul_f64 v[14:15], v[14:15], v[28:29]
	s_waitcnt lgkmcnt(5)
	v_mul_f64 v[62:63], v[10:11], v[34:35]
	s_waitcnt lgkmcnt(4)
	v_mul_f64 v[64:65], v[6:7], v[38:39]
	v_mul_f64 v[10:11], v[10:11], v[32:33]
	;; [unrolled: 1-line block ×3, first 2 shown]
	s_waitcnt lgkmcnt(3)
	v_mul_f64 v[70:71], v[2:3], v[40:41]
	v_mov_b32_e32 v57, v66
	s_waitcnt lgkmcnt(2)
	v_mul_f64 v[72:73], v[22:23], v[46:47]
	v_mul_f64 v[22:23], v[22:23], v[44:45]
	v_mad_u64_u32 v[67:68], null, s9, v135, v[59:60]
	v_mul_f64 v[68:69], v[2:3], v[42:43]
	v_fma_f64 v[2:3], v[12:13], v[28:29], v[60:61]
	v_fma_f64 v[12:13], v[12:13], v[30:31], -v[14:15]
	v_fma_f64 v[14:15], v[8:9], v[32:33], v[62:63]
	v_fma_f64 v[30:31], v[4:5], v[36:37], v[64:65]
	s_waitcnt lgkmcnt(1)
	v_mul_f64 v[28:29], v[18:19], v[50:51]
	v_mul_f64 v[18:19], v[18:19], v[48:49]
	s_waitcnt lgkmcnt(0)
	v_mul_f64 v[32:33], v[26:27], v[54:55]
	v_mul_f64 v[26:27], v[26:27], v[52:53]
	v_fma_f64 v[8:9], v[8:9], v[34:35], -v[10:11]
	v_mov_b32_e32 v59, v67
	v_lshlrev_b64 v[10:11], 4, v[56:57]
	v_fma_f64 v[36:37], v[4:5], v[38:39], -v[6:7]
	v_lshlrev_b64 v[34:35], 4, v[58:59]
	v_add_co_u32 v56, vcc_lo, s2, v10
	v_add_co_ci_u32_e32 v57, vcc_lo, s3, v11, vcc_lo
	v_add_co_u32 v34, vcc_lo, v56, v34
	v_add_co_ci_u32_e32 v35, vcc_lo, v57, v35, vcc_lo
	v_mul_f64 v[6:7], v[14:15], s[0:1]
	v_add_co_u32 v38, vcc_lo, v34, s6
	v_fma_f64 v[14:15], v[0:1], v[40:41], v[68:69]
	v_fma_f64 v[0:1], v[0:1], v[42:43], -v[70:71]
	v_add_co_ci_u32_e32 v39, vcc_lo, s5, v35, vcc_lo
	v_mul_f64 v[10:11], v[30:31], s[0:1]
	v_fma_f64 v[30:31], v[20:21], v[44:45], v[72:73]
	v_fma_f64 v[20:21], v[20:21], v[46:47], -v[22:23]
	v_fma_f64 v[22:23], v[16:17], v[48:49], v[28:29]
	v_fma_f64 v[28:29], v[16:17], v[50:51], -v[18:19]
	v_mad_u64_u32 v[40:41], null, s8, v136, 0
	v_fma_f64 v[32:33], v[24:25], v[52:53], v[32:33]
	v_fma_f64 v[42:43], v[24:25], v[54:55], -v[26:27]
	v_add_co_u32 v44, vcc_lo, v38, s6
	v_add_co_ci_u32_e32 v45, vcc_lo, s5, v39, vcc_lo
	v_mul_f64 v[2:3], v[2:3], s[0:1]
	v_mul_f64 v[4:5], v[12:13], s[0:1]
	v_add_co_u32 v46, vcc_lo, v44, s6
	v_mov_b32_e32 v16, v41
	v_add_co_ci_u32_e32 v47, vcc_lo, s5, v45, vcc_lo
	v_mul_f64 v[12:13], v[36:37], s[0:1]
	v_mul_f64 v[8:9], v[8:9], s[0:1]
	v_mad_u64_u32 v[24:25], null, s9, v136, v[16:17]
	v_mad_u64_u32 v[36:37], null, 0x180, s8, v[46:47]
	v_mul_f64 v[14:15], v[14:15], s[0:1]
	v_mul_f64 v[16:17], v[0:1], s[0:1]
	;; [unrolled: 1-line block ×4, first 2 shown]
	v_mov_b32_e32 v41, v24
	v_mul_f64 v[22:23], v[22:23], s[0:1]
	v_mov_b32_e32 v0, v37
	v_mul_f64 v[24:25], v[28:29], s[0:1]
	v_mul_f64 v[26:27], v[32:33], s[0:1]
	;; [unrolled: 1-line block ×3, first 2 shown]
	global_store_dwordx4 v[34:35], v[2:5], off
	v_mad_u64_u32 v[0:1], null, 0x180, s9, v[0:1]
	v_lshlrev_b64 v[1:2], 4, v[40:41]
	global_store_dwordx4 v[38:39], v[6:9], off
	global_store_dwordx4 v[44:45], v[10:13], off
	v_mov_b32_e32 v37, v0
	v_add_co_u32 v0, vcc_lo, v56, v1
	v_add_co_ci_u32_e32 v1, vcc_lo, v57, v2, vcc_lo
	v_add_co_u32 v2, vcc_lo, v36, s6
	v_add_co_ci_u32_e32 v3, vcc_lo, s5, v37, vcc_lo
	global_store_dwordx4 v[46:47], v[14:17], off
	global_store_dwordx4 v[0:1], v[18:21], off
	;; [unrolled: 1-line block ×4, first 2 shown]
.LBB0_18:
	s_endpgm
	.section	.rodata,"a",@progbits
	.p2align	6, 0x0
	.amdhsa_kernel bluestein_single_back_len84_dim1_dp_op_CI_CI
		.amdhsa_group_segment_fixed_size 13440
		.amdhsa_private_segment_fixed_size 0
		.amdhsa_kernarg_size 104
		.amdhsa_user_sgpr_count 6
		.amdhsa_user_sgpr_private_segment_buffer 1
		.amdhsa_user_sgpr_dispatch_ptr 0
		.amdhsa_user_sgpr_queue_ptr 0
		.amdhsa_user_sgpr_kernarg_segment_ptr 1
		.amdhsa_user_sgpr_dispatch_id 0
		.amdhsa_user_sgpr_flat_scratch_init 0
		.amdhsa_user_sgpr_private_segment_size 0
		.amdhsa_wavefront_size32 1
		.amdhsa_uses_dynamic_stack 0
		.amdhsa_system_sgpr_private_segment_wavefront_offset 0
		.amdhsa_system_sgpr_workgroup_id_x 1
		.amdhsa_system_sgpr_workgroup_id_y 0
		.amdhsa_system_sgpr_workgroup_id_z 0
		.amdhsa_system_sgpr_workgroup_info 0
		.amdhsa_system_vgpr_workitem_id 0
		.amdhsa_next_free_vgpr 185
		.amdhsa_next_free_sgpr 20
		.amdhsa_reserve_vcc 1
		.amdhsa_reserve_flat_scratch 0
		.amdhsa_float_round_mode_32 0
		.amdhsa_float_round_mode_16_64 0
		.amdhsa_float_denorm_mode_32 3
		.amdhsa_float_denorm_mode_16_64 3
		.amdhsa_dx10_clamp 1
		.amdhsa_ieee_mode 1
		.amdhsa_fp16_overflow 0
		.amdhsa_workgroup_processor_mode 1
		.amdhsa_memory_ordered 1
		.amdhsa_forward_progress 0
		.amdhsa_shared_vgpr_count 0
		.amdhsa_exception_fp_ieee_invalid_op 0
		.amdhsa_exception_fp_denorm_src 0
		.amdhsa_exception_fp_ieee_div_zero 0
		.amdhsa_exception_fp_ieee_overflow 0
		.amdhsa_exception_fp_ieee_underflow 0
		.amdhsa_exception_fp_ieee_inexact 0
		.amdhsa_exception_int_div_zero 0
	.end_amdhsa_kernel
	.text
.Lfunc_end0:
	.size	bluestein_single_back_len84_dim1_dp_op_CI_CI, .Lfunc_end0-bluestein_single_back_len84_dim1_dp_op_CI_CI
                                        ; -- End function
	.section	.AMDGPU.csdata,"",@progbits
; Kernel info:
; codeLenInByte = 8220
; NumSgprs: 22
; NumVgprs: 185
; ScratchSize: 0
; MemoryBound: 0
; FloatMode: 240
; IeeeMode: 1
; LDSByteSize: 13440 bytes/workgroup (compile time only)
; SGPRBlocks: 2
; VGPRBlocks: 23
; NumSGPRsForWavesPerEU: 22
; NumVGPRsForWavesPerEU: 185
; Occupancy: 5
; WaveLimiterHint : 1
; COMPUTE_PGM_RSRC2:SCRATCH_EN: 0
; COMPUTE_PGM_RSRC2:USER_SGPR: 6
; COMPUTE_PGM_RSRC2:TRAP_HANDLER: 0
; COMPUTE_PGM_RSRC2:TGID_X_EN: 1
; COMPUTE_PGM_RSRC2:TGID_Y_EN: 0
; COMPUTE_PGM_RSRC2:TGID_Z_EN: 0
; COMPUTE_PGM_RSRC2:TIDIG_COMP_CNT: 0
	.text
	.p2alignl 6, 3214868480
	.fill 48, 4, 3214868480
	.type	__hip_cuid_9046bd9604e0b1aa,@object ; @__hip_cuid_9046bd9604e0b1aa
	.section	.bss,"aw",@nobits
	.globl	__hip_cuid_9046bd9604e0b1aa
__hip_cuid_9046bd9604e0b1aa:
	.byte	0                               ; 0x0
	.size	__hip_cuid_9046bd9604e0b1aa, 1

	.ident	"AMD clang version 19.0.0git (https://github.com/RadeonOpenCompute/llvm-project roc-6.4.0 25133 c7fe45cf4b819c5991fe208aaa96edf142730f1d)"
	.section	".note.GNU-stack","",@progbits
	.addrsig
	.addrsig_sym __hip_cuid_9046bd9604e0b1aa
	.amdgpu_metadata
---
amdhsa.kernels:
  - .args:
      - .actual_access:  read_only
        .address_space:  global
        .offset:         0
        .size:           8
        .value_kind:     global_buffer
      - .actual_access:  read_only
        .address_space:  global
        .offset:         8
        .size:           8
        .value_kind:     global_buffer
      - .actual_access:  read_only
        .address_space:  global
        .offset:         16
        .size:           8
        .value_kind:     global_buffer
      - .actual_access:  read_only
        .address_space:  global
        .offset:         24
        .size:           8
        .value_kind:     global_buffer
      - .actual_access:  read_only
        .address_space:  global
        .offset:         32
        .size:           8
        .value_kind:     global_buffer
      - .offset:         40
        .size:           8
        .value_kind:     by_value
      - .address_space:  global
        .offset:         48
        .size:           8
        .value_kind:     global_buffer
      - .address_space:  global
        .offset:         56
        .size:           8
        .value_kind:     global_buffer
      - .address_space:  global
        .offset:         64
        .size:           8
        .value_kind:     global_buffer
      - .address_space:  global
        .offset:         72
        .size:           8
        .value_kind:     global_buffer
      - .offset:         80
        .size:           4
        .value_kind:     by_value
      - .address_space:  global
        .offset:         88
        .size:           8
        .value_kind:     global_buffer
      - .address_space:  global
        .offset:         96
        .size:           8
        .value_kind:     global_buffer
    .group_segment_fixed_size: 13440
    .kernarg_segment_align: 8
    .kernarg_segment_size: 104
    .language:       OpenCL C
    .language_version:
      - 2
      - 0
    .max_flat_workgroup_size: 120
    .name:           bluestein_single_back_len84_dim1_dp_op_CI_CI
    .private_segment_fixed_size: 0
    .sgpr_count:     22
    .sgpr_spill_count: 0
    .symbol:         bluestein_single_back_len84_dim1_dp_op_CI_CI.kd
    .uniform_work_group_size: 1
    .uses_dynamic_stack: false
    .vgpr_count:     185
    .vgpr_spill_count: 0
    .wavefront_size: 32
    .workgroup_processor_mode: 1
amdhsa.target:   amdgcn-amd-amdhsa--gfx1030
amdhsa.version:
  - 1
  - 2
...

	.end_amdgpu_metadata
